;; amdgpu-corpus repo=ROCm/MIOpen kind=compiled arch=gfx906 opt=O3
	.amdgcn_target "amdgcn-amd-amdhsa--gfx906"
	.amdhsa_code_object_version 6
	.text
	.protected	gridwise_generic_reduce_2_prepare ; -- Begin function gridwise_generic_reduce_2_prepare
	.globl	gridwise_generic_reduce_2_prepare
	.p2align	8
	.type	gridwise_generic_reduce_2_prepare,@function
gridwise_generic_reduce_2_prepare:      ; @gridwise_generic_reduce_2_prepare
; %bb.0:
	v_cmp_eq_u32_e32 vcc, 0, v0
	s_and_saveexec_b64 s[0:1], vcc
	s_cbranch_execz .LBB0_2
; %bb.1:
	s_load_dwordx4 s[0:3], s[4:5], 0x4
	s_load_dwordx2 s[8:9], s[4:5], 0x20
	s_load_dwordx2 s[10:11], s[4:5], 0x38
	v_mov_b32_e32 v4, 0
	s_waitcnt lgkmcnt(0)
	s_add_i32 s3, s1, -1
	s_add_i32 s5, s2, -1
	s_mul_i32 s4, s2, s1
	s_mul_i32 s3, s8, s3
	;; [unrolled: 1-line block ×3, first 2 shown]
	s_add_i32 s3, s3, s5
	s_mov_b32 s5, s0
	s_mov_b32 s6, s0
	v_mov_b32_e32 v0, s4
	s_mul_i32 s7, s4, s0
	v_mov_b32_e32 v1, s5
	v_mov_b32_e32 v2, s6
	global_store_dwordx3 v4, v[0:2], s[10:11]
	global_store_byte v4, v4, s[10:11] offset:12
	v_mov_b32_e32 v0, s7
	v_mov_b32_e32 v1, s7
	global_store_dwordx2 v4, v[0:1], s[10:11] offset:16
	v_mov_b32_e32 v0, s1
	v_mov_b32_e32 v1, s2
	;; [unrolled: 1-line block ×4, first 2 shown]
	s_add_i32 s3, s3, 1
	global_store_dwordx4 v4, v[0:3], s[10:11] offset:2048
	s_mov_b32 s5, s4
	v_mov_b32_e32 v2, v1
	global_store_dwordx3 v4, v[0:2], s[10:11] offset:2064
	global_store_byte v4, v4, s[10:11] offset:2076
	s_mov_b32 s6, s3
	v_mov_b32_e32 v0, s4
	v_mov_b32_e32 v1, s5
	;; [unrolled: 1-line block ×3, first 2 shown]
	global_store_dwordx3 v4, v[0:2], s[10:11] offset:2080
.LBB0_2:
	s_endpgm
	.section	.rodata,"a",@progbits
	.p2align	6, 0x0
	.amdhsa_kernel gridwise_generic_reduce_2_prepare
		.amdhsa_group_segment_fixed_size 0
		.amdhsa_private_segment_fixed_size 0
		.amdhsa_kernarg_size 64
		.amdhsa_user_sgpr_count 6
		.amdhsa_user_sgpr_private_segment_buffer 1
		.amdhsa_user_sgpr_dispatch_ptr 0
		.amdhsa_user_sgpr_queue_ptr 0
		.amdhsa_user_sgpr_kernarg_segment_ptr 1
		.amdhsa_user_sgpr_dispatch_id 0
		.amdhsa_user_sgpr_flat_scratch_init 0
		.amdhsa_user_sgpr_private_segment_size 0
		.amdhsa_uses_dynamic_stack 0
		.amdhsa_system_sgpr_private_segment_wavefront_offset 0
		.amdhsa_system_sgpr_workgroup_id_x 1
		.amdhsa_system_sgpr_workgroup_id_y 0
		.amdhsa_system_sgpr_workgroup_id_z 0
		.amdhsa_system_sgpr_workgroup_info 0
		.amdhsa_system_vgpr_workitem_id 0
		.amdhsa_next_free_vgpr 5
		.amdhsa_next_free_sgpr 12
		.amdhsa_reserve_vcc 1
		.amdhsa_reserve_flat_scratch 0
		.amdhsa_float_round_mode_32 0
		.amdhsa_float_round_mode_16_64 0
		.amdhsa_float_denorm_mode_32 3
		.amdhsa_float_denorm_mode_16_64 3
		.amdhsa_dx10_clamp 1
		.amdhsa_ieee_mode 1
		.amdhsa_fp16_overflow 0
		.amdhsa_exception_fp_ieee_invalid_op 0
		.amdhsa_exception_fp_denorm_src 0
		.amdhsa_exception_fp_ieee_div_zero 0
		.amdhsa_exception_fp_ieee_overflow 0
		.amdhsa_exception_fp_ieee_underflow 0
		.amdhsa_exception_fp_ieee_inexact 0
		.amdhsa_exception_int_div_zero 0
	.end_amdhsa_kernel
	.text
.Lfunc_end0:
	.size	gridwise_generic_reduce_2_prepare, .Lfunc_end0-gridwise_generic_reduce_2_prepare
                                        ; -- End function
	.set gridwise_generic_reduce_2_prepare.num_vgpr, 5
	.set gridwise_generic_reduce_2_prepare.num_agpr, 0
	.set gridwise_generic_reduce_2_prepare.numbered_sgpr, 12
	.set gridwise_generic_reduce_2_prepare.num_named_barrier, 0
	.set gridwise_generic_reduce_2_prepare.private_seg_size, 0
	.set gridwise_generic_reduce_2_prepare.uses_vcc, 1
	.set gridwise_generic_reduce_2_prepare.uses_flat_scratch, 0
	.set gridwise_generic_reduce_2_prepare.has_dyn_sized_stack, 0
	.set gridwise_generic_reduce_2_prepare.has_recursion, 0
	.set gridwise_generic_reduce_2_prepare.has_indirect_call, 0
	.section	.AMDGPU.csdata,"",@progbits
; Kernel info:
; codeLenInByte = 204
; TotalNumSgprs: 16
; NumVgprs: 5
; ScratchSize: 0
; MemoryBound: 0
; FloatMode: 240
; IeeeMode: 1
; LDSByteSize: 0 bytes/workgroup (compile time only)
; SGPRBlocks: 1
; VGPRBlocks: 1
; NumSGPRsForWavesPerEU: 16
; NumVGPRsForWavesPerEU: 5
; Occupancy: 10
; WaveLimiterHint : 1
; COMPUTE_PGM_RSRC2:SCRATCH_EN: 0
; COMPUTE_PGM_RSRC2:USER_SGPR: 6
; COMPUTE_PGM_RSRC2:TRAP_HANDLER: 0
; COMPUTE_PGM_RSRC2:TGID_X_EN: 1
; COMPUTE_PGM_RSRC2:TGID_Y_EN: 0
; COMPUTE_PGM_RSRC2:TGID_Z_EN: 0
; COMPUTE_PGM_RSRC2:TIDIG_COMP_CNT: 0
	.text
	.protected	gridwise_generic_reduce_2 ; -- Begin function gridwise_generic_reduce_2
	.globl	gridwise_generic_reduce_2
	.p2align	8
	.type	gridwise_generic_reduce_2,@function
gridwise_generic_reduce_2:              ; @gridwise_generic_reduce_2
; %bb.0:
	s_load_dwordx4 s[20:23], s[4:5], 0x18
	v_cmp_eq_u32_e32 vcc, 0, v0
	s_waitcnt lgkmcnt(0)
	s_load_dword s0, s[22:23], 0x4
	s_load_dwordx2 s[18:19], s[22:23], 0x808
	s_load_dword s7, s[22:23], 0x818
	s_load_dword s28, s[22:23], 0x828
	s_waitcnt lgkmcnt(0)
	s_cmp_lt_i32 s0, 1
	s_cbranch_scc1 .LBB1_22
; %bb.1:
	s_addk_i32 s0, 0xff
	s_ashr_i32 s1, s0, 31
	s_lshr_b32 s1, s1, 24
	s_add_i32 s0, s0, s1
	s_ashr_i32 s29, s0, 8
	s_load_dword s0, s[22:23], 0x8
	s_load_dword s2, s[22:23], 0x14
	v_lshrrev_b32_e32 v4, 8, v0
	v_lshlrev_b32_e32 v1, 1, v0
	v_and_b32_e32 v3, 0x1fe, v1
	v_add_u32_e32 v1, s6, v4
	s_waitcnt lgkmcnt(0)
	v_mad_u64_u32 v[1:2], s[0:1], s0, v1, v[3:4]
	s_add_u32 s24, s22, 0x1000
	v_lshlrev_b32_e32 v2, 2, v3
	s_movk_i32 s0, 0x80
	s_addc_u32 s25, s23, 0
	s_mov_b32 s30, 2
	s_lshl_b32 s26, s2, 2
	s_mov_b32 s27, 0x20000
	v_lshl_or_b32 v3, v4, 11, v2
	s_add_i32 s31, s29, -2
	v_lshlrev_b32_e32 v4, 2, v0
	v_cmp_gt_u32_e64 s[0:1], s0, v0
	v_cmp_gt_u32_e64 s[2:3], 64, v0
	;; [unrolled: 1-line block ×7, first 2 shown]
	s_mov_b32 s33, 0
	v_mov_b32_e32 v5, 0
	v_mov_b32_e32 v2, 0
	s_branch .LBB1_3
.LBB1_2:                                ;   in Loop: Header=BB1_3 Depth=1
	s_or_b64 exec, exec, s[22:23]
	s_waitcnt lgkmcnt(0)
	s_barrier
	ds_read_b32 v6, v5
	s_add_i32 s33, s33, 2
	s_add_i32 s30, s30, -2
	s_cmp_ge_i32 s33, s29
	v_add_u32_e32 v1, 0x200, v1
	s_waitcnt lgkmcnt(0)
	v_add_f32_e32 v6, v2, v6
	v_cndmask_b32_e32 v2, v2, v6, vcc
	s_cbranch_scc1 .LBB1_23
.LBB1_3:                                ; =>This Loop Header: Depth=1
                                        ;     Child Loop BB1_5 Depth 2
	v_lshlrev_b32_e32 v6, 2, v1
	buffer_load_dwordx2 v[6:7], v6, s[24:27], 0 offen
	s_sub_i32 s22, s29, s33
	s_cmp_ge_i32 s33, s31
	s_cselect_b32 s22, s22, 2
	s_cmp_eq_u32 s22, 0
	s_waitcnt vmcnt(0)
	ds_write_b64 v3, v[6:7]
	v_mov_b32_e32 v6, 0
	s_waitcnt lgkmcnt(0)
	s_barrier
	s_barrier
	s_barrier
	s_cbranch_scc1 .LBB1_6
; %bb.4:                                ;   in Loop: Header=BB1_3 Depth=1
	s_min_i32 s22, s33, s31
	s_add_i32 s22, s22, s30
	v_mov_b32_e32 v6, 0
	v_mov_b32_e32 v7, v4
.LBB1_5:                                ;   Parent Loop BB1_3 Depth=1
                                        ; =>  This Inner Loop Header: Depth=2
	ds_read_b32 v8, v7
	s_add_i32 s22, s22, -1
	v_add_u32_e32 v7, 0x400, v7
	s_cmp_eq_u32 s22, 0
	s_waitcnt lgkmcnt(0)
	v_add_f32_e32 v6, v6, v8
	s_cbranch_scc0 .LBB1_5
.LBB1_6:                                ;   in Loop: Header=BB1_3 Depth=1
	ds_write_b32 v4, v6
	s_waitcnt lgkmcnt(0)
	s_barrier
	s_and_saveexec_b64 s[22:23], s[0:1]
	s_cbranch_execz .LBB1_8
; %bb.7:                                ;   in Loop: Header=BB1_3 Depth=1
	ds_read2st64_b32 v[6:7], v4 offset1:2
	s_waitcnt lgkmcnt(0)
	v_add_f32_e32 v6, v6, v7
	ds_write_b32 v4, v6
.LBB1_8:                                ;   in Loop: Header=BB1_3 Depth=1
	s_or_b64 exec, exec, s[22:23]
	s_waitcnt lgkmcnt(0)
	s_barrier
	s_and_saveexec_b64 s[22:23], s[2:3]
	s_cbranch_execz .LBB1_10
; %bb.9:                                ;   in Loop: Header=BB1_3 Depth=1
	ds_read2st64_b32 v[6:7], v4 offset1:1
	s_waitcnt lgkmcnt(0)
	v_add_f32_e32 v6, v6, v7
	ds_write_b32 v4, v6
.LBB1_10:                               ;   in Loop: Header=BB1_3 Depth=1
	s_or_b64 exec, exec, s[22:23]
	s_waitcnt lgkmcnt(0)
	s_barrier
	s_and_saveexec_b64 s[22:23], s[16:17]
	s_cbranch_execz .LBB1_12
; %bb.11:                               ;   in Loop: Header=BB1_3 Depth=1
	ds_read2_b32 v[6:7], v4 offset1:32
	s_waitcnt lgkmcnt(0)
	v_add_f32_e32 v6, v6, v7
	ds_write_b32 v4, v6
.LBB1_12:                               ;   in Loop: Header=BB1_3 Depth=1
	s_or_b64 exec, exec, s[22:23]
	s_waitcnt lgkmcnt(0)
	s_barrier
	s_and_saveexec_b64 s[22:23], s[8:9]
	s_cbranch_execz .LBB1_14
; %bb.13:                               ;   in Loop: Header=BB1_3 Depth=1
	ds_read2_b32 v[6:7], v4 offset1:16
	s_waitcnt lgkmcnt(0)
	v_add_f32_e32 v6, v6, v7
	ds_write_b32 v4, v6
.LBB1_14:                               ;   in Loop: Header=BB1_3 Depth=1
	;; [unrolled: 11-line block ×5, first 2 shown]
	s_or_b64 exec, exec, s[22:23]
	s_waitcnt lgkmcnt(0)
	s_barrier
	s_and_saveexec_b64 s[22:23], vcc
	s_cbranch_execz .LBB1_2
; %bb.21:                               ;   in Loop: Header=BB1_3 Depth=1
	ds_read_b32 v6, v4
	ds_read_b32 v7, v5 offset:4
	s_waitcnt lgkmcnt(0)
	v_add_f32_e32 v6, v6, v7
	ds_write_b32 v4, v6
	s_branch .LBB1_2
.LBB1_22:
	v_mov_b32_e32 v2, 0
.LBB1_23:
	v_cmp_eq_u32_e32 vcc, 0, v0
	s_and_saveexec_b64 s[0:1], vcc
	s_cbranch_execz .LBB1_27
; %bb.24:
	s_load_dword s1, s[4:5], 0x4
	s_load_dword s0, s[4:5], 0x10
	s_abs_i32 s4, s7
	v_cvt_f32_u32_e32 v1, s4
	s_sub_i32 s8, 0, s4
	s_abs_i32 s5, s6
	s_waitcnt lgkmcnt(0)
	v_mul_f32_e32 v0, s1, v2
	v_rcp_iflag_f32_e32 v1, v1
	v_cmp_eq_f32_e64 vcc, s1, 1.0
	s_xor_b32 s1, s6, s7
	s_lshl_b32 s22, s28, 2
	v_mul_f32_e32 v1, 0x4f7ffffe, v1
	v_cvt_u32_f32_e32 v1, v1
	s_ashr_i32 s1, s1, 31
	v_cmp_eq_f32_e64 s[2:3], s0, 0
	v_cndmask_b32_e32 v0, v0, v2, vcc
	v_readfirstlane_b32 s9, v1
	s_mul_i32 s8, s8, s9
	s_mul_hi_u32 s8, s9, s8
	s_add_i32 s9, s9, s8
	s_mul_hi_u32 s8, s5, s9
	s_mul_i32 s9, s8, s4
	s_sub_i32 s5, s5, s9
	s_add_i32 s9, s8, 1
	s_sub_i32 s10, s5, s4
	s_cmp_ge_u32 s5, s4
	s_cselect_b32 s8, s9, s8
	s_cselect_b32 s5, s10, s5
	s_add_i32 s9, s8, 1
	s_cmp_ge_u32 s5, s4
	s_cselect_b32 s4, s9, s8
	s_xor_b32 s4, s4, s1
	s_sub_i32 s1, s4, s1
	s_mul_i32 s4, s1, s7
	s_sub_i32 s4, s6, s4
	s_mul_i32 s1, s1, s18
	s_mul_i32 s4, s4, s19
	s_add_i32 s4, s4, s1
	s_mov_b32 s23, 0x20000
	s_lshl_b32 s1, s4, 2
	s_and_b64 vcc, exec, s[2:3]
	s_cbranch_vccnz .LBB1_26
; %bb.25:
	v_mov_b32_e32 v1, s1
	buffer_load_dword v1, v1, s[20:23], 0 offen
	s_waitcnt vmcnt(0)
	v_fmac_f32_e32 v0, s0, v1
.LBB1_26:
	v_mov_b32_e32 v1, s1
	buffer_store_dword v0, v1, s[20:23], 0 offen
.LBB1_27:
	s_endpgm
	.section	.rodata,"a",@progbits
	.p2align	6, 0x0
	.amdhsa_kernel gridwise_generic_reduce_2
		.amdhsa_group_segment_fixed_size 2048
		.amdhsa_private_segment_fixed_size 0
		.amdhsa_kernarg_size 56
		.amdhsa_user_sgpr_count 6
		.amdhsa_user_sgpr_private_segment_buffer 1
		.amdhsa_user_sgpr_dispatch_ptr 0
		.amdhsa_user_sgpr_queue_ptr 0
		.amdhsa_user_sgpr_kernarg_segment_ptr 1
		.amdhsa_user_sgpr_dispatch_id 0
		.amdhsa_user_sgpr_flat_scratch_init 0
		.amdhsa_user_sgpr_private_segment_size 0
		.amdhsa_uses_dynamic_stack 0
		.amdhsa_system_sgpr_private_segment_wavefront_offset 0
		.amdhsa_system_sgpr_workgroup_id_x 1
		.amdhsa_system_sgpr_workgroup_id_y 0
		.amdhsa_system_sgpr_workgroup_id_z 0
		.amdhsa_system_sgpr_workgroup_info 0
		.amdhsa_system_vgpr_workitem_id 0
		.amdhsa_next_free_vgpr 29
		.amdhsa_next_free_sgpr 61
		.amdhsa_reserve_vcc 1
		.amdhsa_reserve_flat_scratch 0
		.amdhsa_float_round_mode_32 0
		.amdhsa_float_round_mode_16_64 0
		.amdhsa_float_denorm_mode_32 3
		.amdhsa_float_denorm_mode_16_64 3
		.amdhsa_dx10_clamp 1
		.amdhsa_ieee_mode 1
		.amdhsa_fp16_overflow 0
		.amdhsa_exception_fp_ieee_invalid_op 0
		.amdhsa_exception_fp_denorm_src 0
		.amdhsa_exception_fp_ieee_div_zero 0
		.amdhsa_exception_fp_ieee_overflow 0
		.amdhsa_exception_fp_ieee_underflow 0
		.amdhsa_exception_fp_ieee_inexact 0
		.amdhsa_exception_int_div_zero 0
	.end_amdhsa_kernel
	.text
.Lfunc_end1:
	.size	gridwise_generic_reduce_2, .Lfunc_end1-gridwise_generic_reduce_2
                                        ; -- End function
	.set gridwise_generic_reduce_2.num_vgpr, 9
	.set gridwise_generic_reduce_2.num_agpr, 0
	.set gridwise_generic_reduce_2.numbered_sgpr, 34
	.set gridwise_generic_reduce_2.num_named_barrier, 0
	.set gridwise_generic_reduce_2.private_seg_size, 0
	.set gridwise_generic_reduce_2.uses_vcc, 1
	.set gridwise_generic_reduce_2.uses_flat_scratch, 0
	.set gridwise_generic_reduce_2.has_dyn_sized_stack, 0
	.set gridwise_generic_reduce_2.has_recursion, 0
	.set gridwise_generic_reduce_2.has_indirect_call, 0
	.section	.AMDGPU.csdata,"",@progbits
; Kernel info:
; codeLenInByte = 1040
; TotalNumSgprs: 38
; NumVgprs: 9
; ScratchSize: 0
; MemoryBound: 0
; FloatMode: 240
; IeeeMode: 1
; LDSByteSize: 2048 bytes/workgroup (compile time only)
; SGPRBlocks: 8
; VGPRBlocks: 7
; NumSGPRsForWavesPerEU: 65
; NumVGPRsForWavesPerEU: 29
; Occupancy: 8
; WaveLimiterHint : 1
; COMPUTE_PGM_RSRC2:SCRATCH_EN: 0
; COMPUTE_PGM_RSRC2:USER_SGPR: 6
; COMPUTE_PGM_RSRC2:TRAP_HANDLER: 0
; COMPUTE_PGM_RSRC2:TGID_X_EN: 1
; COMPUTE_PGM_RSRC2:TGID_Y_EN: 0
; COMPUTE_PGM_RSRC2:TGID_Z_EN: 0
; COMPUTE_PGM_RSRC2:TIDIG_COMP_CNT: 0
	.section	.AMDGPU.gpr_maximums,"",@progbits
	.set amdgpu.max_num_vgpr, 0
	.set amdgpu.max_num_agpr, 0
	.set amdgpu.max_num_sgpr, 0
	.section	.AMDGPU.csdata,"",@progbits
	.type	__hip_cuid_eb2222feb749acc3,@object ; @__hip_cuid_eb2222feb749acc3
	.section	.bss,"aw",@nobits
	.globl	__hip_cuid_eb2222feb749acc3
__hip_cuid_eb2222feb749acc3:
	.byte	0                               ; 0x0
	.size	__hip_cuid_eb2222feb749acc3, 1

	.ident	"AMD clang version 22.0.0git (https://github.com/RadeonOpenCompute/llvm-project roc-7.2.4 26084 f58b06dce1f9c15707c5f808fd002e18c2accf7e)"
	.section	".note.GNU-stack","",@progbits
	.addrsig
	.addrsig_sym __hip_cuid_eb2222feb749acc3
	.amdgpu_metadata
---
amdhsa.kernels:
  - .args:
      - .offset:         0
        .size:           4
        .value_kind:     by_value
      - .offset:         4
        .size:           4
        .value_kind:     by_value
      - .offset:         8
        .size:           4
        .value_kind:     by_value
      - .offset:         12
        .size:           4
        .value_kind:     by_value
      - .offset:         16
        .size:           4
        .value_kind:     by_value
      - .offset:         20
        .size:           4
        .value_kind:     by_value
      - .offset:         24
        .size:           4
        .value_kind:     by_value
      - .offset:         28
        .size:           4
        .value_kind:     by_value
      - .offset:         32
        .size:           4
        .value_kind:     by_value
      - .offset:         36
        .size:           4
        .value_kind:     by_value
      - .offset:         40
        .size:           4
        .value_kind:     by_value
      - .offset:         44
        .size:           4
        .value_kind:     by_value
      - .offset:         48
        .size:           4
        .value_kind:     by_value
      - .offset:         52
        .size:           4
        .value_kind:     by_value
      - .actual_access:  write_only
        .address_space:  global
        .offset:         56
        .size:           8
        .value_kind:     global_buffer
    .group_segment_fixed_size: 0
    .kernarg_segment_align: 8
    .kernarg_segment_size: 64
    .language:       OpenCL C
    .language_version:
      - 2
      - 0
    .max_flat_workgroup_size: 1024
    .name:           gridwise_generic_reduce_2_prepare
    .private_segment_fixed_size: 0
    .sgpr_count:     16
    .sgpr_spill_count: 0
    .symbol:         gridwise_generic_reduce_2_prepare.kd
    .uniform_work_group_size: 1
    .uses_dynamic_stack: false
    .vgpr_count:     5
    .vgpr_spill_count: 0
    .wavefront_size: 64
  - .args:
      - .offset:         0
        .size:           4
        .value_kind:     by_value
      - .offset:         4
        .size:           4
        .value_kind:     by_value
      - .actual_access:  read_only
        .address_space:  global
        .offset:         8
        .size:           8
        .value_kind:     global_buffer
      - .offset:         16
        .size:           4
        .value_kind:     by_value
      - .address_space:  global
        .offset:         24
        .size:           8
        .value_kind:     global_buffer
      - .address_space:  constant
        .offset:         32
        .size:           8
        .value_kind:     global_buffer
      - .offset:         40
        .size:           8
        .value_kind:     by_value
      - .actual_access:  read_only
        .address_space:  global
        .offset:         48
        .size:           8
        .value_kind:     global_buffer
    .group_segment_fixed_size: 2048
    .kernarg_segment_align: 8
    .kernarg_segment_size: 56
    .language:       OpenCL C
    .language_version:
      - 2
      - 0
    .max_flat_workgroup_size: 1024
    .name:           gridwise_generic_reduce_2
    .private_segment_fixed_size: 0
    .sgpr_count:     38
    .sgpr_spill_count: 0
    .symbol:         gridwise_generic_reduce_2.kd
    .uniform_work_group_size: 1
    .uses_dynamic_stack: false
    .vgpr_count:     9
    .vgpr_spill_count: 0
    .wavefront_size: 64
amdhsa.target:   amdgcn-amd-amdhsa--gfx906
amdhsa.version:
  - 1
  - 2
...

	.end_amdgpu_metadata
